;; amdgpu-corpus repo=ROCm/rocFFT kind=compiled arch=gfx906 opt=O3
	.text
	.amdgcn_target "amdgcn-amd-amdhsa--gfx906"
	.amdhsa_code_object_version 6
	.protected	fft_rtc_back_len1456_factors_13_4_7_2_2_wgs_182_tpt_182_halfLds_dp_ip_CI_unitstride_sbrr_C2R_dirReg ; -- Begin function fft_rtc_back_len1456_factors_13_4_7_2_2_wgs_182_tpt_182_halfLds_dp_ip_CI_unitstride_sbrr_C2R_dirReg
	.globl	fft_rtc_back_len1456_factors_13_4_7_2_2_wgs_182_tpt_182_halfLds_dp_ip_CI_unitstride_sbrr_C2R_dirReg
	.p2align	8
	.type	fft_rtc_back_len1456_factors_13_4_7_2_2_wgs_182_tpt_182_halfLds_dp_ip_CI_unitstride_sbrr_C2R_dirReg,@function
fft_rtc_back_len1456_factors_13_4_7_2_2_wgs_182_tpt_182_halfLds_dp_ip_CI_unitstride_sbrr_C2R_dirReg: ; @fft_rtc_back_len1456_factors_13_4_7_2_2_wgs_182_tpt_182_halfLds_dp_ip_CI_unitstride_sbrr_C2R_dirReg
; %bb.0:
	s_mov_b64 s[50:51], s[2:3]
	s_mov_b64 s[48:49], s[0:1]
	s_load_dwordx2 s[2:3], s[4:5], 0x50
	s_load_dwordx4 s[8:11], s[4:5], 0x0
	s_load_dwordx2 s[12:13], s[4:5], 0x18
	v_mul_u32_u24_e32 v1, 0x169, v0
	s_add_u32 s48, s48, s7
	v_add_u32_sdwa v5, s6, v1 dst_sel:DWORD dst_unused:UNUSED_PAD src0_sel:DWORD src1_sel:WORD_1
	s_waitcnt lgkmcnt(0)
	v_cmp_lt_u64_e64 s[0:1], s[10:11], 2
	v_mov_b32_e32 v3, 0
	v_mov_b32_e32 v1, 0
	s_addc_u32 s49, s49, 0
	v_mov_b32_e32 v6, v3
	s_and_b64 vcc, exec, s[0:1]
	v_mov_b32_e32 v2, 0
	s_cbranch_vccnz .LBB0_8
; %bb.1:
	s_load_dwordx2 s[0:1], s[4:5], 0x10
	s_add_u32 s6, s12, 8
	s_addc_u32 s7, s13, 0
	v_mov_b32_e32 v1, 0
	v_mov_b32_e32 v2, 0
	s_waitcnt lgkmcnt(0)
	s_add_u32 s14, s0, 8
	s_addc_u32 s15, s1, 0
	s_mov_b64 s[16:17], 1
.LBB0_2:                                ; =>This Inner Loop Header: Depth=1
	s_load_dwordx2 s[18:19], s[14:15], 0x0
                                        ; implicit-def: $vgpr7_vgpr8
	s_waitcnt lgkmcnt(0)
	v_or_b32_e32 v4, s19, v6
	v_cmp_ne_u64_e32 vcc, 0, v[3:4]
	s_and_saveexec_b64 s[0:1], vcc
	s_xor_b64 s[20:21], exec, s[0:1]
	s_cbranch_execz .LBB0_4
; %bb.3:                                ;   in Loop: Header=BB0_2 Depth=1
	v_cvt_f32_u32_e32 v4, s18
	v_cvt_f32_u32_e32 v7, s19
	s_sub_u32 s0, 0, s18
	s_subb_u32 s1, 0, s19
	v_mac_f32_e32 v4, 0x4f800000, v7
	v_rcp_f32_e32 v4, v4
	v_mul_f32_e32 v4, 0x5f7ffffc, v4
	v_mul_f32_e32 v7, 0x2f800000, v4
	v_trunc_f32_e32 v7, v7
	v_mac_f32_e32 v4, 0xcf800000, v7
	v_cvt_u32_f32_e32 v7, v7
	v_cvt_u32_f32_e32 v4, v4
	v_mul_lo_u32 v8, s0, v7
	v_mul_hi_u32 v9, s0, v4
	v_mul_lo_u32 v11, s1, v4
	v_mul_lo_u32 v10, s0, v4
	v_add_u32_e32 v8, v9, v8
	v_add_u32_e32 v8, v8, v11
	v_mul_hi_u32 v9, v4, v10
	v_mul_lo_u32 v11, v4, v8
	v_mul_hi_u32 v13, v4, v8
	v_mul_hi_u32 v12, v7, v10
	v_mul_lo_u32 v10, v7, v10
	v_mul_hi_u32 v14, v7, v8
	v_add_co_u32_e32 v9, vcc, v9, v11
	v_addc_co_u32_e32 v11, vcc, 0, v13, vcc
	v_mul_lo_u32 v8, v7, v8
	v_add_co_u32_e32 v9, vcc, v9, v10
	v_addc_co_u32_e32 v9, vcc, v11, v12, vcc
	v_addc_co_u32_e32 v10, vcc, 0, v14, vcc
	v_add_co_u32_e32 v8, vcc, v9, v8
	v_addc_co_u32_e32 v9, vcc, 0, v10, vcc
	v_add_co_u32_e32 v4, vcc, v4, v8
	v_addc_co_u32_e32 v7, vcc, v7, v9, vcc
	v_mul_lo_u32 v8, s0, v7
	v_mul_hi_u32 v9, s0, v4
	v_mul_lo_u32 v10, s1, v4
	v_mul_lo_u32 v11, s0, v4
	v_add_u32_e32 v8, v9, v8
	v_add_u32_e32 v8, v8, v10
	v_mul_lo_u32 v12, v4, v8
	v_mul_hi_u32 v13, v4, v11
	v_mul_hi_u32 v14, v4, v8
	v_mul_hi_u32 v10, v7, v11
	v_mul_lo_u32 v11, v7, v11
	v_mul_hi_u32 v9, v7, v8
	v_add_co_u32_e32 v12, vcc, v13, v12
	v_addc_co_u32_e32 v13, vcc, 0, v14, vcc
	v_mul_lo_u32 v8, v7, v8
	v_add_co_u32_e32 v11, vcc, v12, v11
	v_addc_co_u32_e32 v10, vcc, v13, v10, vcc
	v_addc_co_u32_e32 v9, vcc, 0, v9, vcc
	v_add_co_u32_e32 v8, vcc, v10, v8
	v_addc_co_u32_e32 v9, vcc, 0, v9, vcc
	v_add_co_u32_e32 v4, vcc, v4, v8
	v_addc_co_u32_e32 v9, vcc, v7, v9, vcc
	v_mad_u64_u32 v[7:8], s[0:1], v5, v9, 0
	v_mul_hi_u32 v10, v5, v4
	v_add_co_u32_e32 v11, vcc, v10, v7
	v_addc_co_u32_e32 v12, vcc, 0, v8, vcc
	v_mad_u64_u32 v[7:8], s[0:1], v6, v4, 0
	v_mad_u64_u32 v[9:10], s[0:1], v6, v9, 0
	v_add_co_u32_e32 v4, vcc, v11, v7
	v_addc_co_u32_e32 v4, vcc, v12, v8, vcc
	v_addc_co_u32_e32 v7, vcc, 0, v10, vcc
	v_add_co_u32_e32 v4, vcc, v4, v9
	v_addc_co_u32_e32 v9, vcc, 0, v7, vcc
	v_mul_lo_u32 v10, s19, v4
	v_mul_lo_u32 v11, s18, v9
	v_mad_u64_u32 v[7:8], s[0:1], s18, v4, 0
	v_add3_u32 v8, v8, v11, v10
	v_sub_u32_e32 v10, v6, v8
	v_mov_b32_e32 v11, s19
	v_sub_co_u32_e32 v7, vcc, v5, v7
	v_subb_co_u32_e64 v10, s[0:1], v10, v11, vcc
	v_subrev_co_u32_e64 v11, s[0:1], s18, v7
	v_subbrev_co_u32_e64 v10, s[0:1], 0, v10, s[0:1]
	v_cmp_le_u32_e64 s[0:1], s19, v10
	v_cndmask_b32_e64 v12, 0, -1, s[0:1]
	v_cmp_le_u32_e64 s[0:1], s18, v11
	v_cndmask_b32_e64 v11, 0, -1, s[0:1]
	v_cmp_eq_u32_e64 s[0:1], s19, v10
	v_cndmask_b32_e64 v10, v12, v11, s[0:1]
	v_add_co_u32_e64 v11, s[0:1], 2, v4
	v_addc_co_u32_e64 v12, s[0:1], 0, v9, s[0:1]
	v_add_co_u32_e64 v13, s[0:1], 1, v4
	v_addc_co_u32_e64 v14, s[0:1], 0, v9, s[0:1]
	v_subb_co_u32_e32 v8, vcc, v6, v8, vcc
	v_cmp_ne_u32_e64 s[0:1], 0, v10
	v_cmp_le_u32_e32 vcc, s19, v8
	v_cndmask_b32_e64 v10, v14, v12, s[0:1]
	v_cndmask_b32_e64 v12, 0, -1, vcc
	v_cmp_le_u32_e32 vcc, s18, v7
	v_cndmask_b32_e64 v7, 0, -1, vcc
	v_cmp_eq_u32_e32 vcc, s19, v8
	v_cndmask_b32_e32 v7, v12, v7, vcc
	v_cmp_ne_u32_e32 vcc, 0, v7
	v_cndmask_b32_e64 v7, v13, v11, s[0:1]
	v_cndmask_b32_e32 v8, v9, v10, vcc
	v_cndmask_b32_e32 v7, v4, v7, vcc
.LBB0_4:                                ;   in Loop: Header=BB0_2 Depth=1
	s_andn2_saveexec_b64 s[0:1], s[20:21]
	s_cbranch_execz .LBB0_6
; %bb.5:                                ;   in Loop: Header=BB0_2 Depth=1
	v_cvt_f32_u32_e32 v4, s18
	s_sub_i32 s20, 0, s18
	v_rcp_iflag_f32_e32 v4, v4
	v_mul_f32_e32 v4, 0x4f7ffffe, v4
	v_cvt_u32_f32_e32 v4, v4
	v_mul_lo_u32 v7, s20, v4
	v_mul_hi_u32 v7, v4, v7
	v_add_u32_e32 v4, v4, v7
	v_mul_hi_u32 v4, v5, v4
	v_mul_lo_u32 v7, v4, s18
	v_add_u32_e32 v8, 1, v4
	v_sub_u32_e32 v7, v5, v7
	v_subrev_u32_e32 v9, s18, v7
	v_cmp_le_u32_e32 vcc, s18, v7
	v_cndmask_b32_e32 v7, v7, v9, vcc
	v_cndmask_b32_e32 v4, v4, v8, vcc
	v_add_u32_e32 v8, 1, v4
	v_cmp_le_u32_e32 vcc, s18, v7
	v_cndmask_b32_e32 v7, v4, v8, vcc
	v_mov_b32_e32 v8, v3
.LBB0_6:                                ;   in Loop: Header=BB0_2 Depth=1
	s_or_b64 exec, exec, s[0:1]
	v_mul_lo_u32 v4, v8, s18
	v_mul_lo_u32 v11, v7, s19
	v_mad_u64_u32 v[9:10], s[0:1], v7, s18, 0
	s_load_dwordx2 s[0:1], s[6:7], 0x0
	s_add_u32 s16, s16, 1
	v_add3_u32 v4, v10, v11, v4
	v_sub_co_u32_e32 v5, vcc, v5, v9
	v_subb_co_u32_e32 v4, vcc, v6, v4, vcc
	s_waitcnt lgkmcnt(0)
	v_mul_lo_u32 v4, s0, v4
	v_mul_lo_u32 v6, s1, v5
	v_mad_u64_u32 v[1:2], s[0:1], s0, v5, v[1:2]
	s_addc_u32 s17, s17, 0
	s_add_u32 s6, s6, 8
	v_add3_u32 v2, v6, v2, v4
	v_mov_b32_e32 v4, s10
	v_mov_b32_e32 v5, s11
	s_addc_u32 s7, s7, 0
	v_cmp_ge_u64_e32 vcc, s[16:17], v[4:5]
	s_add_u32 s14, s14, 8
	s_addc_u32 s15, s15, 0
	s_cbranch_vccnz .LBB0_9
; %bb.7:                                ;   in Loop: Header=BB0_2 Depth=1
	v_mov_b32_e32 v5, v7
	v_mov_b32_e32 v6, v8
	s_branch .LBB0_2
.LBB0_8:
	v_mov_b32_e32 v8, v6
	v_mov_b32_e32 v7, v5
.LBB0_9:
	s_lshl_b64 s[0:1], s[10:11], 3
	s_add_u32 s0, s12, s0
	s_addc_u32 s1, s13, s1
	s_load_dwordx2 s[6:7], s[0:1], 0x0
	s_load_dwordx2 s[10:11], s[4:5], 0x20
	s_waitcnt lgkmcnt(0)
	v_mad_u64_u32 v[1:2], s[0:1], s6, v7, v[1:2]
	s_mov_b32 s0, 0x1681682
	v_mul_lo_u32 v3, s6, v8
	v_mul_lo_u32 v4, s7, v7
	v_mul_hi_u32 v5, v0, s0
	v_cmp_gt_u64_e64 s[0:1], s[10:11], v[7:8]
	v_add3_u32 v2, v4, v2, v3
	v_mul_u32_u24_e32 v3, 0xb6, v5
	v_sub_u32_e32 v4, v0, v3
	v_lshlrev_b64 v[253:254], 4, v[1:2]
	v_mov_b32_e32 v5, 0
	v_mov_b32_e32 v78, v4
	s_and_saveexec_b64 s[4:5], s[0:1]
	s_cbranch_execz .LBB0_13
; %bb.10:
	v_mov_b32_e32 v0, s3
	v_add_co_u32_e32 v3, vcc, s2, v253
	v_addc_co_u32_e32 v2, vcc, v0, v254, vcc
	v_lshlrev_b64 v[0:1], 4, v[4:5]
	s_movk_i32 s6, 0xb5
	v_add_co_u32_e32 v0, vcc, v3, v0
	v_addc_co_u32_e32 v1, vcc, v2, v1, vcc
	v_add_co_u32_e32 v22, vcc, 0x1000, v0
	v_addc_co_u32_e32 v23, vcc, 0, v1, vcc
	;; [unrolled: 2-line block ×4, first 2 shown]
	global_load_dwordx4 v[6:9], v[0:1], off
	global_load_dwordx4 v[10:13], v[0:1], off offset:2912
	v_add_co_u32_e32 v0, vcc, 0x4000, v0
	v_addc_co_u32_e32 v1, vcc, 0, v1, vcc
	global_load_dwordx4 v[14:17], v[22:23], off offset:1728
	global_load_dwordx4 v[18:21], v[30:31], off offset:544
	s_nop 0
	global_load_dwordx4 v[22:25], v[30:31], off offset:3456
	global_load_dwordx4 v[26:29], v[32:33], off offset:2272
	s_nop 0
	global_load_dwordx4 v[30:33], v[0:1], off offset:1088
	global_load_dwordx4 v[34:37], v[0:1], off offset:4000
	v_lshl_add_u32 v0, v4, 4, 0
	v_cmp_eq_u32_e32 vcc, s6, v4
	s_waitcnt vmcnt(7)
	ds_write_b128 v0, v[6:9]
	s_waitcnt vmcnt(6)
	ds_write_b128 v0, v[10:13] offset:2912
	s_waitcnt vmcnt(5)
	ds_write_b128 v0, v[14:17] offset:5824
	;; [unrolled: 2-line block ×7, first 2 shown]
	v_mov_b32_e32 v0, v4
	v_mov_b32_e32 v1, v5
	s_and_saveexec_b64 s[6:7], vcc
	s_cbranch_execz .LBB0_12
; %bb.11:
	v_add_co_u32_e32 v0, vcc, 0x5000, v3
	v_addc_co_u32_e32 v1, vcc, 0, v2, vcc
	global_load_dwordx4 v[2:5], v[0:1], off offset:2816
	v_mov_b32_e32 v6, 0
	v_mov_b32_e32 v0, 0xb5
	;; [unrolled: 1-line block ×3, first 2 shown]
	s_waitcnt vmcnt(0)
	ds_write_b128 v6, v[2:5] offset:23296
	v_mov_b32_e32 v4, 0xb5
.LBB0_12:
	s_or_b64 exec, exec, s[6:7]
	v_mov_b32_e32 v78, v4
	v_mov_b32_e32 v5, v1
	;; [unrolled: 1-line block ×3, first 2 shown]
.LBB0_13:
	s_or_b64 exec, exec, s[4:5]
	v_lshlrev_b32_e32 v0, 4, v78
	v_add_u32_e32 v248, 0, v0
	s_waitcnt lgkmcnt(0)
	s_barrier
	v_sub_u32_e32 v10, 0, v0
	ds_read_b64 v[6:7], v248
	ds_read_b64 v[8:9], v10 offset:23296
	s_add_u32 s6, s8, 0x5a30
	v_lshlrev_b64 v[4:5], 4, v[4:5]
	s_addc_u32 s7, s9, 0
	v_cmp_ne_u32_e32 vcc, 0, v78
	s_waitcnt lgkmcnt(0)
	v_add_f64 v[0:1], v[6:7], v[8:9]
	v_add_f64 v[2:3], v[6:7], -v[8:9]
	buffer_store_dword v4, off, s[48:51], 0 ; 4-byte Folded Spill
	s_nop 0
	buffer_store_dword v5, off, s[48:51], 0 offset:4 ; 4-byte Folded Spill
	s_and_saveexec_b64 s[4:5], vcc
	s_xor_b64 s[4:5], exec, s[4:5]
	s_cbranch_execz .LBB0_15
; %bb.14:
	buffer_load_dword v2, off, s[48:51], 0  ; 4-byte Folded Reload
	buffer_load_dword v3, off, s[48:51], 0 offset:4 ; 4-byte Folded Reload
	v_mov_b32_e32 v1, s7
	v_add_f64 v[13:14], v[6:7], v[8:9]
	v_add_f64 v[8:9], v[6:7], -v[8:9]
	s_waitcnt vmcnt(1)
	v_add_co_u32_e32 v0, vcc, s6, v2
	s_waitcnt vmcnt(0)
	v_addc_co_u32_e32 v1, vcc, v1, v3, vcc
	global_load_dwordx4 v[2:5], v[0:1], off
	ds_read_b64 v[0:1], v10 offset:23304
	ds_read_b64 v[11:12], v248 offset:8
	s_waitcnt lgkmcnt(0)
	v_add_f64 v[15:16], v[0:1], v[11:12]
	v_add_f64 v[0:1], v[11:12], -v[0:1]
	s_waitcnt vmcnt(0)
	v_fma_f64 v[6:7], -v[8:9], v[4:5], v[13:14]
	v_fma_f64 v[11:12], v[15:16], v[4:5], -v[0:1]
	v_fma_f64 v[13:14], v[8:9], v[4:5], v[13:14]
	v_fma_f64 v[17:18], v[15:16], v[4:5], v[0:1]
	;; [unrolled: 1-line block ×4, first 2 shown]
	v_fma_f64 v[0:1], -v[15:16], v[2:3], v[13:14]
	v_fma_f64 v[2:3], v[8:9], v[2:3], v[17:18]
	ds_write_b128 v10, v[4:7] offset:23296
.LBB0_15:
	s_andn2_saveexec_b64 s[4:5], s[4:5]
	s_cbranch_execz .LBB0_17
; %bb.16:
	v_mov_b32_e32 v8, 0
	ds_read_b128 v[4:7], v8 offset:11648
	s_waitcnt lgkmcnt(0)
	v_add_f64 v[4:5], v[4:5], v[4:5]
	v_mul_f64 v[6:7], v[6:7], -2.0
	ds_write_b128 v8, v[4:7] offset:11648
.LBB0_17:
	s_or_b64 exec, exec, s[4:5]
	v_mov_b32_e32 v79, 0
	v_lshlrev_b64 v[5:6], 4, v[78:79]
	v_mov_b32_e32 v4, s7
	v_add_co_u32_e32 v8, vcc, s6, v5
	buffer_store_dword v5, off, s[48:51], 0 offset:8 ; 4-byte Folded Spill
	s_nop 0
	buffer_store_dword v6, off, s[48:51], 0 offset:12 ; 4-byte Folded Spill
	s_movk_i32 s4, 0x1000
	ds_write_b128 v248, v[0:3]
	s_mov_b32 s24, 0x4267c47c
	s_mov_b32 s25, 0xbfddbe06
	;; [unrolled: 1-line block ×34, first 2 shown]
	s_movk_i32 s33, 0x70
	v_addc_co_u32_e32 v9, vcc, v4, v6, vcc
	global_load_dwordx4 v[4:7], v[8:9], off offset:2912
	v_add_co_u32_e32 v11, vcc, s4, v8
	v_addc_co_u32_e32 v12, vcc, 0, v9, vcc
	global_load_dwordx4 v[11:14], v[11:12], off offset:1728
	s_movk_i32 s4, 0x2000
	v_add_co_u32_e32 v0, vcc, s4, v8
	v_addc_co_u32_e32 v1, vcc, 0, v9, vcc
	ds_read_b128 v[15:18], v248 offset:2912
	ds_read_b128 v[19:22], v10 offset:20384
	global_load_dwordx4 v[0:3], v[0:1], off offset:544
	s_mov_b32 s4, 0x1ea71119
	s_mov_b32 s5, 0x3fe22d96
	v_cmp_gt_u32_e32 vcc, s33, v78
	s_waitcnt lgkmcnt(0)
	v_add_f64 v[8:9], v[15:16], v[19:20]
	v_add_f64 v[23:24], v[21:22], v[17:18]
	v_add_f64 v[19:20], v[15:16], -v[19:20]
	v_add_f64 v[15:16], v[17:18], -v[21:22]
	s_waitcnt vmcnt(2)
	v_fma_f64 v[17:18], v[19:20], v[6:7], v[8:9]
	v_fma_f64 v[21:22], v[23:24], v[6:7], v[15:16]
	v_fma_f64 v[25:26], -v[19:20], v[6:7], v[8:9]
	v_fma_f64 v[27:28], v[23:24], v[6:7], -v[15:16]
	v_fma_f64 v[6:7], -v[23:24], v[4:5], v[17:18]
	v_fma_f64 v[8:9], v[19:20], v[4:5], v[21:22]
	v_fma_f64 v[15:16], v[23:24], v[4:5], v[25:26]
	;; [unrolled: 1-line block ×3, first 2 shown]
	ds_write_b128 v248, v[6:9] offset:2912
	ds_write_b128 v10, v[15:18] offset:20384
	ds_read_b128 v[4:7], v248 offset:5824
	ds_read_b128 v[15:18], v10 offset:17472
	s_waitcnt lgkmcnt(0)
	v_add_f64 v[8:9], v[4:5], v[15:16]
	v_add_f64 v[19:20], v[17:18], v[6:7]
	v_add_f64 v[15:16], v[4:5], -v[15:16]
	v_add_f64 v[4:5], v[6:7], -v[17:18]
	s_waitcnt vmcnt(1)
	v_fma_f64 v[6:7], v[15:16], v[13:14], v[8:9]
	v_fma_f64 v[17:18], v[19:20], v[13:14], v[4:5]
	v_fma_f64 v[8:9], -v[15:16], v[13:14], v[8:9]
	v_fma_f64 v[21:22], v[19:20], v[13:14], -v[4:5]
	v_fma_f64 v[4:5], -v[19:20], v[11:12], v[6:7]
	v_fma_f64 v[6:7], v[15:16], v[11:12], v[17:18]
	v_fma_f64 v[13:14], v[19:20], v[11:12], v[8:9]
	;; [unrolled: 1-line block ×3, first 2 shown]
	ds_write_b128 v248, v[4:7] offset:5824
	ds_write_b128 v10, v[13:16] offset:17472
	ds_read_b128 v[4:7], v248 offset:8736
	ds_read_b128 v[11:14], v10 offset:14560
	s_waitcnt lgkmcnt(0)
	v_add_f64 v[8:9], v[4:5], v[11:12]
	v_add_f64 v[15:16], v[13:14], v[6:7]
	v_add_f64 v[11:12], v[4:5], -v[11:12]
	v_add_f64 v[4:5], v[6:7], -v[13:14]
	s_waitcnt vmcnt(0)
	v_fma_f64 v[6:7], v[11:12], v[2:3], v[8:9]
	v_fma_f64 v[13:14], v[15:16], v[2:3], v[4:5]
	v_fma_f64 v[8:9], -v[11:12], v[2:3], v[8:9]
	v_fma_f64 v[17:18], v[15:16], v[2:3], -v[4:5]
	v_fma_f64 v[2:3], -v[15:16], v[0:1], v[6:7]
	v_fma_f64 v[4:5], v[11:12], v[0:1], v[13:14]
	v_fma_f64 v[6:7], v[15:16], v[0:1], v[8:9]
	;; [unrolled: 1-line block ×3, first 2 shown]
	ds_write_b128 v248, v[2:5] offset:8736
	ds_write_b128 v10, v[6:9] offset:14560
	s_waitcnt lgkmcnt(0)
	s_barrier
	s_barrier
	ds_read_b128 v[20:23], v248 offset:21504
	ds_read_b128 v[68:71], v248 offset:1792
	ds_read_b128 v[36:39], v248
	ds_read_b128 v[64:67], v248 offset:3584
	ds_read_b128 v[60:63], v248 offset:5376
	;; [unrolled: 1-line block ×10, first 2 shown]
	s_waitcnt lgkmcnt(11)
	v_add_f64 v[232:233], v[70:71], -v[22:23]
	v_add_f64 v[188:189], v[68:69], v[20:21]
	v_add_f64 v[210:211], v[70:71], v[22:23]
	s_waitcnt lgkmcnt(7)
	v_add_f64 v[224:225], v[66:67], -v[26:27]
	v_add_f64 v[172:173], v[64:65], v[24:25]
	v_add_f64 v[190:191], v[68:69], -v[20:21]
	v_add_f64 v[212:213], v[66:67], v[26:27]
	s_waitcnt lgkmcnt(6)
	v_add_f64 v[222:223], v[62:63], -v[30:31]
	v_mul_f64 v[106:107], v[232:233], s[24:25]
	v_mul_f64 v[116:117], v[232:233], s[10:11]
	;; [unrolled: 1-line block ×5, first 2 shown]
	v_add_f64 v[174:175], v[64:65], -v[24:25]
	v_add_f64 v[168:169], v[60:61], v[28:29]
	v_add_f64 v[214:215], v[62:63], v[30:31]
	v_fma_f64 v[0:1], v[188:189], s[6:7], -v[106:107]
	v_mul_f64 v[108:109], v[212:213], s[4:5]
	v_mul_f64 v[98:99], v[222:223], s[14:15]
	;; [unrolled: 1-line block ×4, first 2 shown]
	v_fma_f64 v[2:3], v[190:191], s[24:25], v[112:113]
	v_fma_f64 v[4:5], v[172:173], s[4:5], -v[104:105]
	v_fma_f64 v[138:139], v[188:189], s[4:5], -v[116:117]
	v_fma_f64 v[140:141], v[190:191], s[10:11], v[142:143]
	v_add_f64 v[0:1], v[36:37], v[0:1]
	v_add_f64 v[170:171], v[60:61], -v[28:29]
	s_waitcnt lgkmcnt(3)
	v_add_f64 v[220:221], v[58:59], -v[34:35]
	v_add_f64 v[206:207], v[58:59], v[34:35]
	v_mul_f64 v[100:101], v[214:215], s[12:13]
	v_mul_f64 v[114:115], v[222:223], s[28:29]
	;; [unrolled: 1-line block ×4, first 2 shown]
	v_fma_f64 v[6:7], v[174:175], s[10:11], v[108:109]
	v_fma_f64 v[8:9], v[168:169], s[12:13], -v[98:99]
	v_add_f64 v[2:3], v[38:39], v[2:3]
	v_fma_f64 v[148:149], v[172:173], s[20:21], -v[118:119]
	v_fma_f64 v[150:151], v[174:175], s[22:23], v[128:129]
	v_add_f64 v[138:139], v[36:37], v[138:139]
	v_add_f64 v[140:141], v[38:39], v[140:141]
	;; [unrolled: 1-line block ×4, first 2 shown]
	v_add_f64 v[166:167], v[56:57], -v[32:33]
	s_waitcnt lgkmcnt(2)
	v_add_f64 v[72:73], v[54:55], -v[42:43]
	v_add_f64 v[204:205], v[54:55], v[42:43]
	v_mul_f64 v[92:93], v[220:221], s[22:23]
	v_mul_f64 v[110:111], v[220:221], s[38:39]
	;; [unrolled: 1-line block ×5, first 2 shown]
	v_fma_f64 v[10:11], v[170:171], s[14:15], v[100:101]
	v_fma_f64 v[176:177], v[168:169], s[26:27], -v[114:115]
	v_fma_f64 v[178:179], v[170:171], s[28:29], v[126:127]
	v_add_f64 v[2:3], v[6:7], v[2:3]
	v_add_f64 v[138:139], v[148:149], v[138:139]
	v_add_f64 v[140:141], v[150:151], v[140:141]
	v_add_f64 v[0:1], v[8:9], v[0:1]
	v_fma_f64 v[8:9], v[188:189], s[12:13], -v[134:135]
	v_add_f64 v[160:161], v[52:53], v[40:41]
	v_add_f64 v[162:163], v[52:53], -v[40:41]
	s_waitcnt lgkmcnt(0)
	v_add_f64 v[74:75], v[50:51], -v[46:47]
	v_mul_f64 v[94:95], v[206:207], s[20:21]
	v_mul_f64 v[81:82], v[72:73], s[18:19]
	;; [unrolled: 1-line block ×5, first 2 shown]
	v_fma_f64 v[12:13], v[164:165], s[20:21], -v[92:93]
	v_fma_f64 v[4:5], v[164:165], s[16:17], -v[110:111]
	v_fma_f64 v[6:7], v[166:167], s[38:39], v[124:125]
	v_add_f64 v[2:3], v[10:11], v[2:3]
	v_fma_f64 v[10:11], v[190:191], s[14:15], v[158:159]
	v_fma_f64 v[148:149], v[172:173], s[26:27], -v[132:133]
	v_add_f64 v[138:139], v[176:177], v[138:139]
	v_add_f64 v[140:141], v[178:179], v[140:141]
	;; [unrolled: 1-line block ×5, first 2 shown]
	v_mul_f64 v[83:84], v[204:205], s[16:17]
	v_mul_f64 v[76:77], v[74:75], s[28:29]
	v_mul_f64 v[136:137], v[214:215], s[20:21]
	v_fma_f64 v[14:15], v[166:167], s[22:23], v[94:95]
	v_fma_f64 v[16:17], v[160:161], s[16:17], -v[81:82]
	v_fma_f64 v[182:183], v[162:163], s[34:35], v[122:123]
	v_fma_f64 v[150:151], v[174:175], s[28:29], v[156:157]
	v_add_f64 v[0:1], v[12:13], v[0:1]
	v_add_f64 v[10:11], v[38:39], v[10:11]
	v_fma_f64 v[12:13], v[168:169], s[20:21], -v[130:131]
	v_add_f64 v[4:5], v[4:5], v[138:139]
	v_add_f64 v[6:7], v[6:7], v[140:141]
	;; [unrolled: 1-line block ×3, first 2 shown]
	v_mul_f64 v[138:139], v[220:221], s[30:31]
	v_add_f64 v[154:155], v[48:49], -v[44:45]
	v_mul_f64 v[79:80], v[208:209], s[26:27]
	v_mul_f64 v[102:103], v[72:73], s[34:35]
	v_fma_f64 v[18:19], v[162:163], s[18:19], v[83:84]
	v_fma_f64 v[144:145], v[152:153], s[26:27], -v[76:77]
	v_add_f64 v[2:3], v[14:15], v[2:3]
	v_fma_f64 v[14:15], v[170:171], s[40:41], v[136:137]
	v_add_f64 v[0:1], v[16:17], v[0:1]
	v_add_f64 v[10:11], v[150:151], v[10:11]
	v_mul_f64 v[140:141], v[206:207], s[6:7]
	v_add_f64 v[6:7], v[182:183], v[6:7]
	v_add_f64 v[8:9], v[12:13], v[8:9]
	v_fma_f64 v[12:13], v[164:165], s[6:7], -v[138:139]
	v_mul_f64 v[182:183], v[232:233], s[22:23]
	v_fma_f64 v[146:147], v[154:155], s[28:29], v[79:80]
	v_fma_f64 v[180:181], v[160:161], s[12:13], -v[102:103]
	v_add_f64 v[2:3], v[18:19], v[2:3]
	v_add_f64 v[0:1], v[144:145], v[0:1]
	;; [unrolled: 1-line block ×3, first 2 shown]
	v_fma_f64 v[14:15], v[166:167], s[30:31], v[140:141]
	v_mul_f64 v[202:203], v[210:211], s[20:21]
	v_mul_f64 v[144:145], v[72:73], s[10:11]
	v_add_f64 v[8:9], v[12:13], v[8:9]
	v_fma_f64 v[12:13], v[188:189], s[20:21], -v[182:183]
	v_mul_f64 v[178:179], v[224:225], s[38:39]
	v_mul_f64 v[96:97], v[74:75], s[30:31]
	v_add_f64 v[4:5], v[180:181], v[4:5]
	v_add_f64 v[2:3], v[146:147], v[2:3]
	v_mul_f64 v[148:149], v[204:205], s[4:5]
	v_add_f64 v[10:11], v[14:15], v[10:11]
	v_fma_f64 v[14:15], v[190:191], s[22:23], v[202:203]
	v_mul_f64 v[192:193], v[212:213], s[16:17]
	v_fma_f64 v[176:177], v[160:161], s[4:5], -v[144:145]
	v_mul_f64 v[146:147], v[74:75], s[18:19]
	v_add_f64 v[12:13], v[36:37], v[12:13]
	v_fma_f64 v[186:187], v[172:173], s[16:17], -v[178:179]
	v_mul_f64 v[180:181], v[222:223], s[30:31]
	v_mul_f64 v[120:121], v[208:209], s[6:7]
	v_fma_f64 v[16:17], v[152:153], s[6:7], -v[96:97]
	v_fma_f64 v[184:185], v[162:163], s[10:11], v[148:149]
	v_mul_f64 v[150:151], v[208:209], s[16:17]
	v_add_f64 v[14:15], v[38:39], v[14:15]
	v_fma_f64 v[196:197], v[174:175], s[38:39], v[192:193]
	v_mul_f64 v[194:195], v[214:215], s[6:7]
	v_add_f64 v[198:199], v[176:177], v[8:9]
	v_fma_f64 v[200:201], v[152:153], s[16:17], -v[146:147]
	v_add_f64 v[12:13], v[186:187], v[12:13]
	v_fma_f64 v[186:187], v[168:169], s[6:7], -v[180:181]
	v_mul_f64 v[228:229], v[232:233], s[18:19]
	v_mul_f64 v[246:247], v[210:211], s[16:17]
	v_fma_f64 v[18:19], v[154:155], s[30:31], v[120:121]
	v_add_f64 v[184:185], v[184:185], v[10:11]
	v_fma_f64 v[216:217], v[154:155], s[18:19], v[150:151]
	v_add_f64 v[14:15], v[196:197], v[14:15]
	;; [unrolled: 2-line block ×3, first 2 shown]
	v_mul_f64 v[176:177], v[220:221], s[14:15]
	v_mul_f64 v[196:197], v[206:207], s[12:13]
	v_add_f64 v[4:5], v[200:201], v[198:199]
	v_add_f64 v[12:13], v[186:187], v[12:13]
	v_fma_f64 v[186:187], v[188:189], s[16:17], -v[228:229]
	v_mul_f64 v[226:227], v[224:225], s[34:35]
	v_fma_f64 v[200:201], v[190:191], s[18:19], v[246:247]
	v_mul_f64 v[244:245], v[212:213], s[12:13]
	v_add_f64 v[10:11], v[18:19], v[6:7]
	v_add_f64 v[6:7], v[216:217], v[184:185]
	;; [unrolled: 1-line block ×3, first 2 shown]
	v_fma_f64 v[16:17], v[164:165], s[12:13], -v[176:177]
	v_fma_f64 v[18:19], v[166:167], s[14:15], v[196:197]
	v_mul_f64 v[184:185], v[72:73], s[42:43]
	v_mul_f64 v[198:199], v[204:205], s[26:27]
	v_add_f64 v[216:217], v[36:37], v[186:187]
	v_fma_f64 v[230:231], v[172:173], s[12:13], -v[226:227]
	v_add_f64 v[234:235], v[38:39], v[200:201]
	v_fma_f64 v[236:237], v[174:175], s[34:35], v[244:245]
	v_mul_f64 v[218:219], v[222:223], s[10:11]
	v_mul_f64 v[242:243], v[214:215], s[4:5]
	v_add_f64 v[12:13], v[16:17], v[12:13]
	v_add_f64 v[14:15], v[18:19], v[14:15]
	v_fma_f64 v[16:17], v[160:161], s[26:27], -v[184:185]
	v_fma_f64 v[18:19], v[162:163], s[42:43], v[198:199]
	v_mul_f64 v[186:187], v[74:75], s[44:45]
	v_mul_f64 v[200:201], v[208:209], s[4:5]
	v_add_f64 v[230:231], v[230:231], v[216:217]
	v_add_f64 v[234:235], v[236:237], v[234:235]
	v_fma_f64 v[236:237], v[168:169], s[4:5], -v[218:219]
	v_fma_f64 v[238:239], v[170:171], s[10:11], v[242:243]
	v_mul_f64 v[216:217], v[220:221], s[42:43]
	v_mul_f64 v[240:241], v[206:207], s[26:27]
	v_add_f64 v[12:13], v[16:17], v[12:13]
	v_add_f64 v[14:15], v[18:19], v[14:15]
	v_fma_f64 v[16:17], v[152:153], s[4:5], -v[186:187]
	v_fma_f64 v[18:19], v[154:155], s[44:45], v[200:201]
	v_add_f64 v[236:237], v[236:237], v[230:231]
	v_add_f64 v[234:235], v[238:239], v[234:235]
	v_fma_f64 v[249:250], v[164:165], s[26:27], -v[216:217]
	v_fma_f64 v[251:252], v[166:167], s[42:43], v[240:241]
	v_mul_f64 v[230:231], v[72:73], s[30:31]
	v_mul_f64 v[238:239], v[204:205], s[6:7]
	v_add_f64 v[12:13], v[16:17], v[12:13]
	v_add_f64 v[14:15], v[18:19], v[14:15]
	s_barrier
	v_add_f64 v[16:17], v[249:250], v[236:237]
	v_add_f64 v[18:19], v[251:252], v[234:235]
	v_fma_f64 v[249:250], v[160:161], s[6:7], -v[230:231]
	v_fma_f64 v[251:252], v[162:163], s[30:31], v[238:239]
	v_mul_f64 v[234:235], v[74:75], s[22:23]
	v_mul_f64 v[236:237], v[208:209], s[20:21]
	v_add_f64 v[16:17], v[249:250], v[16:17]
	v_add_f64 v[18:19], v[251:252], v[18:19]
	v_fma_f64 v[249:250], v[152:153], s[20:21], -v[234:235]
	v_fma_f64 v[251:252], v[154:155], s[22:23], v[236:237]
	v_add_f64 v[16:17], v[249:250], v[16:17]
	v_add_f64 v[18:19], v[251:252], v[18:19]
	s_and_saveexec_b64 s[36:37], vcc
	s_cbranch_execz .LBB0_19
; %bb.18:
	v_mul_f64 v[249:250], v[190:191], s[28:29]
	v_mov_b32_e32 v89, v253
	v_mul_f64 v[251:252], v[174:175], s[30:31]
	v_mov_b32_e32 v90, v254
	buffer_store_dword v76, off, s[48:51], 0 offset:16 ; 4-byte Folded Spill
	s_nop 0
	buffer_store_dword v77, off, s[48:51], 0 offset:20 ; 4-byte Folded Spill
	v_mul_f64 v[232:233], v[232:233], s[28:29]
	v_mul_f64 v[224:225], v[224:225], s[30:31]
	buffer_store_dword v79, off, s[48:51], 0 offset:24 ; 4-byte Folded Spill
	s_nop 0
	buffer_store_dword v80, off, s[48:51], 0 offset:28 ; 4-byte Folded Spill
	v_fma_f64 v[253:254], v[210:211], s[26:27], v[249:250]
	buffer_store_dword v81, off, s[48:51], 0 offset:32 ; 4-byte Folded Spill
	s_nop 0
	buffer_store_dword v82, off, s[48:51], 0 offset:36 ; 4-byte Folded Spill
	v_fma_f64 v[76:77], v[212:213], s[6:7], v[251:252]
	buffer_store_dword v83, off, s[48:51], 0 offset:40 ; 4-byte Folded Spill
	s_nop 0
	buffer_store_dword v84, off, s[48:51], 0 offset:44 ; 4-byte Folded Spill
	v_mul_f64 v[87:88], v[154:155], s[34:35]
	v_fma_f64 v[212:213], v[212:213], s[6:7], -v[251:252]
	v_fma_f64 v[79:80], v[172:173], s[6:7], -v[224:225]
	v_add_f64 v[68:69], v[36:37], v[68:69]
	v_add_f64 v[253:254], v[38:39], v[253:254]
	;; [unrolled: 1-line block ×5, first 2 shown]
	v_fma_f64 v[253:254], v[188:189], s[26:27], -v[232:233]
	v_add_f64 v[66:67], v[70:71], v[66:67]
	v_add_f64 v[60:61], v[64:65], v[60:61]
	;; [unrolled: 1-line block ×6, first 2 shown]
	v_mul_f64 v[253:254], v[170:171], s[18:19]
	v_add_f64 v[58:59], v[62:63], v[58:59]
	v_add_f64 v[52:53], v[56:57], v[52:53]
	v_fma_f64 v[81:82], v[214:215], s[16:17], v[253:254]
	v_add_f64 v[54:55], v[58:59], v[54:55]
	v_add_f64 v[48:49], v[52:53], v[48:49]
	;; [unrolled: 1-line block ×3, first 2 shown]
	v_mul_f64 v[81:82], v[222:223], s[18:19]
	v_add_f64 v[50:51], v[54:55], v[50:51]
	v_add_f64 v[44:45], v[48:49], v[44:45]
	v_fma_f64 v[222:223], v[168:169], s[16:17], -v[81:82]
	v_fma_f64 v[81:82], v[168:169], s[16:17], v[81:82]
	v_add_f64 v[46:47], v[50:51], v[46:47]
	v_add_f64 v[40:41], v[44:45], v[40:41]
	;; [unrolled: 1-line block ×3, first 2 shown]
	v_mul_f64 v[222:223], v[166:167], s[44:45]
	v_add_f64 v[42:43], v[46:47], v[42:43]
	v_add_f64 v[32:33], v[40:41], v[32:33]
	v_fma_f64 v[83:84], v[206:207], s[4:5], v[222:223]
	v_fma_f64 v[206:207], v[206:207], s[4:5], -v[222:223]
	v_mul_f64 v[222:223], v[190:191], s[24:25]
	v_add_f64 v[34:35], v[42:43], v[34:35]
	v_add_f64 v[28:29], v[32:33], v[28:29]
	;; [unrolled: 1-line block ×3, first 2 shown]
	v_mul_f64 v[83:84], v[220:221], s[44:45]
	v_add_f64 v[30:31], v[34:35], v[30:31]
	v_fma_f64 v[220:221], v[164:165], s[4:5], -v[83:84]
	v_fma_f64 v[83:84], v[164:165], s[4:5], v[83:84]
	v_add_f64 v[26:27], v[30:31], v[26:27]
	v_add_f64 v[30:31], v[28:29], v[24:25]
	;; [unrolled: 1-line block ×3, first 2 shown]
	v_mul_f64 v[220:221], v[162:163], s[22:23]
	v_fma_f64 v[85:86], v[204:205], s[20:21], v[220:221]
	v_fma_f64 v[204:205], v[204:205], s[20:21], -v[220:221]
	v_mul_f64 v[220:221], v[188:189], s[12:13]
	v_add_f64 v[76:77], v[85:86], v[76:77]
	v_mul_f64 v[85:86], v[72:73], s[22:23]
	v_add_f64 v[134:135], v[220:221], v[134:135]
	v_fma_f64 v[72:73], v[160:161], s[20:21], -v[85:86]
	v_fma_f64 v[85:86], v[160:161], s[20:21], v[85:86]
	v_add_f64 v[72:73], v[72:73], v[79:80]
	v_mul_f64 v[79:80], v[74:75], s[34:35]
	v_fma_f64 v[74:75], v[208:209], s[12:13], v[87:88]
	v_fma_f64 v[87:88], v[208:209], s[12:13], -v[87:88]
	v_mul_f64 v[208:209], v[190:191], s[18:19]
	v_add_f64 v[74:75], v[74:75], v[76:77]
	v_fma_f64 v[76:77], v[152:153], s[12:13], -v[79:80]
	v_add_f64 v[208:209], v[246:247], -v[208:209]
	v_mul_f64 v[246:247], v[188:189], s[16:17]
	v_fma_f64 v[79:80], v[152:153], s[12:13], v[79:80]
	v_add_f64 v[72:73], v[76:77], v[72:73]
	v_fma_f64 v[76:77], v[210:211], s[26:27], -v[249:250]
	v_fma_f64 v[210:211], v[214:215], s[16:17], -v[253:254]
	v_fma_f64 v[214:215], v[172:173], s[6:7], v[224:225]
	v_mul_f64 v[224:225], v[174:175], s[34:35]
	v_add_f64 v[208:209], v[38:39], v[208:209]
	v_mov_b32_e32 v254, v90
	v_mov_b32_e32 v253, v89
	v_add_f64 v[76:77], v[38:39], v[76:77]
	v_add_f64 v[224:225], v[244:245], -v[224:225]
	v_mul_f64 v[244:245], v[190:191], s[22:23]
	v_add_f64 v[76:77], v[212:213], v[76:77]
	v_fma_f64 v[212:213], v[188:189], s[26:27], v[232:233]
	v_mul_f64 v[232:233], v[190:191], s[14:15]
	v_add_f64 v[202:203], v[202:203], -v[244:245]
	v_mul_f64 v[244:245], v[152:153], s[16:17]
	v_add_f64 v[76:77], v[210:211], v[76:77]
	v_add_f64 v[212:213], v[36:37], v[212:213]
	v_mul_f64 v[210:211], v[188:189], s[4:5]
	v_add_f64 v[232:233], v[158:159], -v[232:233]
	v_add_f64 v[56:57], v[244:245], v[146:147]
	v_add_f64 v[76:77], v[206:207], v[76:77]
	;; [unrolled: 1-line block ×3, first 2 shown]
	v_mul_f64 v[206:207], v[170:171], s[10:11]
	v_mul_f64 v[214:215], v[188:189], s[6:7]
	v_add_f64 v[54:55], v[210:211], v[116:117]
	v_add_f64 v[76:77], v[204:205], v[76:77]
	;; [unrolled: 1-line block ×3, first 2 shown]
	v_mul_f64 v[212:213], v[190:191], s[10:11]
	v_mul_f64 v[190:191], v[166:167], s[42:43]
	;; [unrolled: 1-line block ×3, first 2 shown]
	v_add_f64 v[52:53], v[214:215], v[106:107]
	v_add_f64 v[81:82], v[83:84], v[81:82]
	v_mul_f64 v[83:84], v[188:189], s[20:21]
	v_add_f64 v[188:189], v[242:243], -v[206:207]
	v_add_f64 v[206:207], v[224:225], v[208:209]
	v_add_f64 v[224:225], v[240:241], -v[190:191]
	v_mul_f64 v[208:209], v[172:173], s[4:5]
	v_mul_f64 v[240:241], v[172:173], s[20:21]
	v_add_f64 v[190:191], v[87:88], v[76:77]
	v_add_f64 v[81:82], v[85:86], v[81:82]
	v_mul_f64 v[76:77], v[172:173], s[26:27]
	v_mul_f64 v[85:86], v[174:175], s[10:11]
	v_add_f64 v[206:207], v[188:189], v[206:207]
	v_mul_f64 v[242:243], v[174:175], s[22:23]
	v_mul_f64 v[87:88], v[174:175], s[28:29]
	;; [unrolled: 1-line block ×3, first 2 shown]
	v_add_f64 v[83:84], v[83:84], v[182:183]
	v_add_f64 v[188:189], v[79:80], v[81:82]
	v_add_f64 v[81:82], v[238:239], -v[204:205]
	v_mul_f64 v[79:80], v[154:155], s[22:23]
	v_add_f64 v[204:205], v[224:225], v[206:207]
	v_add_f64 v[224:225], v[246:247], v[228:229]
	v_mul_f64 v[228:229], v[172:173], s[16:17]
	v_mul_f64 v[172:173], v[172:173], s[12:13]
	v_mul_f64 v[206:207], v[152:153], s[20:21]
	v_add_f64 v[174:175], v[192:193], -v[174:175]
	v_add_f64 v[192:193], v[38:39], v[202:203]
	v_add_f64 v[79:80], v[236:237], -v[79:80]
	v_add_f64 v[81:82], v[81:82], v[204:205]
	v_mul_f64 v[204:205], v[160:161], s[6:7]
	v_add_f64 v[224:225], v[36:37], v[224:225]
	v_add_f64 v[172:173], v[172:173], v[226:227]
	;; [unrolled: 1-line block ×3, first 2 shown]
	v_mul_f64 v[234:235], v[168:169], s[4:5]
	v_mul_f64 v[236:237], v[168:169], s[12:13]
	;; [unrolled: 1-line block ×4, first 2 shown]
	v_add_f64 v[204:205], v[204:205], v[230:231]
	v_mul_f64 v[230:231], v[164:165], s[26:27]
	v_add_f64 v[172:173], v[172:173], v[224:225]
	v_mul_f64 v[224:225], v[170:171], s[30:31]
	;; [unrolled: 2-line block ×3, first 2 shown]
	v_add_f64 v[174:175], v[174:175], v[192:193]
	v_add_f64 v[178:179], v[228:229], v[178:179]
	;; [unrolled: 1-line block ×4, first 2 shown]
	v_mul_f64 v[230:231], v[166:167], s[14:15]
	v_add_f64 v[194:195], v[194:195], -v[224:225]
	v_mul_f64 v[224:225], v[164:165], s[20:21]
	v_add_f64 v[172:173], v[218:219], v[172:173]
	v_mul_f64 v[218:219], v[164:165], s[16:17]
	v_mul_f64 v[182:183], v[164:165], s[6:7]
	;; [unrolled: 1-line block ×3, first 2 shown]
	v_add_f64 v[168:169], v[168:169], v[180:181]
	v_add_f64 v[196:197], v[196:197], -v[230:231]
	v_add_f64 v[174:175], v[194:195], v[174:175]
	v_mul_f64 v[194:195], v[162:163], s[42:43]
	v_add_f64 v[83:84], v[178:179], v[83:84]
	v_add_f64 v[172:173], v[216:217], v[172:173]
	v_mul_f64 v[216:217], v[160:161], s[16:17]
	v_mul_f64 v[178:179], v[160:161], s[4:5]
	v_add_f64 v[164:165], v[164:165], v[176:177]
	v_mul_f64 v[226:227], v[170:171], s[14:15]
	v_add_f64 v[174:175], v[196:197], v[174:175]
	v_add_f64 v[194:195], v[198:199], -v[194:195]
	v_mul_f64 v[198:199], v[154:155], s[44:45]
	v_mul_f64 v[196:197], v[160:161], s[12:13]
	;; [unrolled: 1-line block ×3, first 2 shown]
	v_add_f64 v[83:84], v[168:169], v[83:84]
	v_mul_f64 v[234:235], v[170:171], s[28:29]
	v_mul_f64 v[170:171], v[170:171], s[40:41]
	;; [unrolled: 1-line block ×4, first 2 shown]
	v_add_f64 v[198:199], v[200:201], -v[198:199]
	v_mul_f64 v[200:201], v[152:153], s[26:27]
	v_add_f64 v[152:153], v[79:80], v[81:82]
	v_add_f64 v[81:82], v[160:161], v[184:185]
	;; [unrolled: 1-line block ×3, first 2 shown]
	v_add_f64 v[87:88], v[156:157], -v[87:88]
	v_add_f64 v[156:157], v[38:39], v[232:233]
	v_add_f64 v[142:143], v[142:143], -v[212:213]
	v_mul_f64 v[192:193], v[166:167], s[22:23]
	v_mul_f64 v[230:231], v[166:167], s[38:39]
	;; [unrolled: 1-line block ×3, first 2 shown]
	v_add_f64 v[128:129], v[128:129], -v[242:243]
	v_add_f64 v[81:82], v[81:82], v[83:84]
	v_add_f64 v[83:84], v[136:137], -v[170:171]
	v_add_f64 v[87:88], v[87:88], v[156:157]
	v_add_f64 v[136:137], v[38:39], v[142:143]
	;; [unrolled: 1-line block ×4, first 2 shown]
	v_add_f64 v[68:69], v[140:141], -v[166:167]
	v_add_f64 v[66:67], v[202:203], v[130:131]
	v_add_f64 v[48:49], v[36:37], v[52:53]
	v_add_f64 v[36:37], v[36:37], v[54:55]
	v_add_f64 v[83:84], v[83:84], v[87:88]
	v_add_f64 v[87:88], v[126:127], -v[234:235]
	v_add_f64 v[126:127], v[128:129], v[136:137]
	v_add_f64 v[70:71], v[70:71], v[76:77]
	v_add_f64 v[76:77], v[124:125], -v[230:231]
	v_add_f64 v[54:55], v[236:237], v[98:99]
	v_mul_f64 v[228:229], v[162:163], s[18:19]
	v_mul_f64 v[180:181], v[162:163], s[34:35]
	v_add_f64 v[68:69], v[68:69], v[83:84]
	v_mul_f64 v[162:163], v[162:163], s[10:11]
	v_add_f64 v[83:84], v[87:88], v[126:127]
	v_add_f64 v[66:67], v[66:67], v[70:71]
	v_add_f64 v[52:53], v[100:101], -v[226:227]
	v_add_f64 v[50:51], v[238:239], v[114:115]
	v_add_f64 v[46:47], v[218:219], v[110:111]
	;; [unrolled: 1-line block ×4, first 2 shown]
	v_add_f64 v[64:65], v[148:149], -v[162:163]
	v_add_f64 v[70:71], v[76:77], v[83:84]
	v_add_f64 v[76:77], v[112:113], -v[222:223]
	v_add_f64 v[83:84], v[108:109], -v[85:86]
	v_mul_f64 v[194:195], v[154:155], s[28:29]
	v_mul_f64 v[168:169], v[154:155], s[30:31]
	v_add_f64 v[42:43], v[196:197], v[102:103]
	v_mul_f64 v[154:155], v[154:155], s[18:19]
	v_add_f64 v[64:65], v[64:65], v[68:69]
	v_add_f64 v[68:69], v[122:123], -v[180:181]
	v_add_f64 v[38:39], v[38:39], v[76:77]
	v_add_f64 v[76:77], v[208:209], v[104:105]
	;; [unrolled: 1-line block ×4, first 2 shown]
	v_add_f64 v[66:67], v[120:121], -v[168:169]
	v_add_f64 v[60:61], v[150:151], -v[154:155]
	v_add_f64 v[160:161], v[246:247], v[186:187]
	v_add_f64 v[68:69], v[68:69], v[70:71]
	;; [unrolled: 1-line block ×5, first 2 shown]
	v_add_f64 v[48:49], v[94:95], -v[192:193]
	v_add_f64 v[79:80], v[204:205], v[172:173]
	v_add_f64 v[24:25], v[60:61], v[64:65]
	;; [unrolled: 1-line block ×6, first 2 shown]
	buffer_load_dword v44, off, s[48:51], 0 offset:40 ; 4-byte Folded Reload
	buffer_load_dword v45, off, s[48:51], 0 offset:44 ; 4-byte Folded Reload
	v_add_f64 v[38:39], v[52:53], v[38:39]
	v_add_f64 v[52:53], v[224:225], v[92:93]
	;; [unrolled: 1-line block ×4, first 2 shown]
	s_movk_i32 s4, 0xc0
	v_add_f64 v[36:37], v[50:51], v[36:37]
	v_add_f64 v[38:39], v[48:49], v[38:39]
	buffer_load_dword v48, off, s[48:51], 0 offset:32 ; 4-byte Folded Reload
	buffer_load_dword v49, off, s[48:51], 0 offset:36 ; 4-byte Folded Reload
	v_add_f64 v[32:33], v[52:53], v[40:41]
	v_add_f64 v[40:41], v[176:177], v[96:97]
	;; [unrolled: 1-line block ×3, first 2 shown]
	buffer_load_dword v36, off, s[48:51], 0 offset:24 ; 4-byte Folded Reload
	buffer_load_dword v37, off, s[48:51], 0 offset:28 ; 4-byte Folded Reload
	v_add_f64 v[42:43], v[42:43], v[34:35]
	v_add_f64 v[34:35], v[30:31], v[20:21]
	v_mad_u32_u24 v20, v78, s4, v248
	s_waitcnt vmcnt(4)
	v_add_f64 v[44:45], v[44:45], -v[228:229]
	v_add_f64 v[38:39], v[44:45], v[38:39]
	buffer_load_dword v44, off, s[48:51], 0 offset:16 ; 4-byte Folded Reload
	buffer_load_dword v45, off, s[48:51], 0 offset:20 ; 4-byte Folded Reload
	s_waitcnt vmcnt(4)
	v_add_f64 v[48:49], v[216:217], v[48:49]
	s_waitcnt vmcnt(2)
	v_add_f64 v[36:37], v[36:37], -v[194:195]
	v_add_f64 v[46:47], v[48:49], v[32:33]
	v_add_f64 v[48:49], v[58:59], v[62:63]
	;; [unrolled: 1-line block ×6, first 2 shown]
	s_waitcnt vmcnt(0)
	v_add_f64 v[44:45], v[200:201], v[44:45]
	v_add_f64 v[30:31], v[44:45], v[46:47]
	ds_write_b128 v20, v[34:37]
	ds_write_b128 v20, v[30:33] offset:16
	ds_write_b128 v20, v[26:29] offset:32
	;; [unrolled: 1-line block ×12, first 2 shown]
.LBB0_19:
	s_or_b64 exec, exec, s[36:37]
	s_movk_i32 s4, 0x4f
	v_add_u32_e32 v56, 0xb6, v78
	v_mul_lo_u16_sdwa v59, v78, s4 dst_sel:DWORD dst_unused:UNUSED_PAD src0_sel:BYTE_0 src1_sel:DWORD
	s_movk_i32 s4, 0x4ec5
	v_lshrrev_b16_e32 v76, 10, v59
	v_mul_u32_u24_sdwa v57, v56, s4 dst_sel:DWORD dst_unused:UNUSED_PAD src0_sel:WORD_0 src1_sel:DWORD
	v_mul_lo_u16_e32 v20, 13, v76
	v_lshrrev_b32_e32 v79, 18, v57
	v_sub_u16_e32 v77, v78, v20
	v_mov_b32_e32 v20, 3
	v_mul_lo_u16_e32 v29, 13, v79
	v_mul_u32_u24_sdwa v20, v77, v20 dst_sel:DWORD dst_unused:UNUSED_PAD src0_sel:BYTE_0 src1_sel:DWORD
	v_sub_u16_e32 v80, v56, v29
	v_lshlrev_b32_e32 v28, 4, v20
	v_mul_u32_u24_e32 v32, 3, v80
	s_waitcnt lgkmcnt(0)
	s_barrier
	global_load_dwordx4 v[20:23], v28, s[8:9] offset:16
	global_load_dwordx4 v[24:27], v28, s[8:9]
	v_lshlrev_b32_e32 v44, 4, v32
	global_load_dwordx4 v[28:31], v28, s[8:9] offset:32
	s_nop 0
	global_load_dwordx4 v[32:35], v44, s[8:9]
	global_load_dwordx4 v[36:39], v44, s[8:9] offset:16
	global_load_dwordx4 v[40:43], v44, s[8:9] offset:32
	ds_read_b128 v[44:47], v248
	ds_read_b128 v[48:51], v248 offset:2912
	ds_read_b128 v[52:55], v248 offset:5824
	;; [unrolled: 1-line block ×7, first 2 shown]
	v_mov_b32_e32 v58, 4
	v_mul_u32_u24_e32 v76, 0x340, v76
	v_mul_u32_u24_e32 v79, 0x340, v79
	v_lshlrev_b32_sdwa v77, v58, v77 dst_sel:DWORD dst_unused:UNUSED_PAD src0_sel:DWORD src1_sel:BYTE_0
	v_lshlrev_b32_e32 v80, 4, v80
	v_add3_u32 v83, 0, v76, v77
	v_add3_u32 v94, 0, v79, v80
	s_waitcnt vmcnt(0) lgkmcnt(0)
	s_barrier
	v_cmp_gt_u32_e32 vcc, 26, v78
	v_mul_f64 v[79:80], v[66:67], v[22:23]
	v_mul_f64 v[76:77], v[54:55], v[26:27]
	;; [unrolled: 1-line block ×12, first 2 shown]
	v_fma_f64 v[52:53], v[52:53], v[24:25], v[76:77]
	v_fma_f64 v[24:25], v[54:55], v[24:25], -v[26:27]
	v_fma_f64 v[26:27], v[64:65], v[20:21], v[79:80]
	v_fma_f64 v[20:21], v[66:67], v[20:21], -v[22:23]
	;; [unrolled: 2-line block ×6, first 2 shown]
	v_add_f64 v[42:43], v[44:45], -v[26:27]
	v_add_f64 v[54:55], v[46:47], -v[20:21]
	;; [unrolled: 1-line block ×8, first 2 shown]
	v_fma_f64 v[44:45], v[44:45], 2.0, -v[42:43]
	v_fma_f64 v[46:47], v[46:47], 2.0, -v[54:55]
	;; [unrolled: 1-line block ×8, first 2 shown]
	v_add_f64 v[24:25], v[42:43], v[22:23]
	v_add_f64 v[26:27], v[54:55], -v[20:21]
	v_add_f64 v[20:21], v[60:61], v[28:29]
	v_add_f64 v[28:29], v[44:45], -v[34:35]
	v_add_f64 v[30:31], v[46:47], -v[38:39]
	;; [unrolled: 1-line block ×5, first 2 shown]
	v_fma_f64 v[36:37], v[42:43], 2.0, -v[24:25]
	v_fma_f64 v[38:39], v[54:55], 2.0, -v[26:27]
	;; [unrolled: 1-line block ×8, first 2 shown]
	ds_write_b128 v83, v[24:27] offset:624
	ds_write_b128 v83, v[36:39] offset:208
	;; [unrolled: 1-line block ×3, first 2 shown]
	ds_write_b128 v83, v[44:47]
	ds_write_b128 v94, v[48:51]
	ds_write_b128 v94, v[40:43] offset:208
	ds_write_b128 v94, v[32:35] offset:416
	;; [unrolled: 1-line block ×3, first 2 shown]
	s_waitcnt lgkmcnt(0)
	s_barrier
	ds_read_b128 v[28:31], v248
	ds_read_b128 v[48:51], v248 offset:3328
	ds_read_b128 v[44:47], v248 offset:6656
	;; [unrolled: 1-line block ×6, first 2 shown]
                                        ; implicit-def: $vgpr26_vgpr27
	s_and_saveexec_b64 s[4:5], vcc
	s_cbranch_execz .LBB0_21
; %bb.20:
	ds_read_b128 v[20:23], v248 offset:2912
	ds_read_b128 v[16:19], v248 offset:6240
	;; [unrolled: 1-line block ×7, first 2 shown]
.LBB0_21:
	s_or_b64 exec, exec, s[4:5]
	v_lshrrev_b16_e32 v75, 12, v59
	v_mul_lo_u16_e32 v59, 52, v75
	v_sub_u16_e32 v76, v78, v59
	v_mov_b32_e32 v59, 6
	v_mul_u32_u24_sdwa v59, v76, v59 dst_sel:DWORD dst_unused:UNUSED_PAD src0_sel:BYTE_0 src1_sel:DWORD
	v_lshlrev_b32_e32 v77, 4, v59
	global_load_dwordx4 v[59:62], v77, s[8:9] offset:624
	global_load_dwordx4 v[63:66], v77, s[8:9] offset:640
	;; [unrolled: 1-line block ×6, first 2 shown]
	v_mul_u32_u24_e32 v75, 0x16c0, v75
	v_lshlrev_b32_sdwa v58, v58, v76 dst_sel:DWORD dst_unused:UNUSED_PAD src0_sel:DWORD src1_sel:BYTE_0
	v_add3_u32 v77, 0, v75, v58
	s_mov_b32 s10, 0x37e14327
	s_mov_b32 s12, 0x36b3c0b5
	;; [unrolled: 1-line block ×20, first 2 shown]
	s_waitcnt vmcnt(0) lgkmcnt(0)
	s_barrier
	v_mul_f64 v[75:76], v[50:51], v[61:62]
	v_mul_f64 v[61:62], v[48:49], v[61:62]
	;; [unrolled: 1-line block ×12, first 2 shown]
	v_fma_f64 v[48:49], v[48:49], v[59:60], v[75:76]
	v_fma_f64 v[50:51], v[50:51], v[59:60], -v[61:62]
	v_fma_f64 v[44:45], v[44:45], v[63:64], v[79:80]
	v_fma_f64 v[46:47], v[46:47], v[63:64], -v[65:66]
	;; [unrolled: 2-line block ×6, first 2 shown]
	v_add_f64 v[58:59], v[48:49], v[52:53]
	v_add_f64 v[60:61], v[50:51], v[54:55]
	v_add_f64 v[48:49], v[48:49], -v[52:53]
	v_add_f64 v[50:51], v[50:51], -v[54:55]
	v_add_f64 v[52:53], v[44:45], v[40:41]
	v_add_f64 v[54:55], v[46:47], v[42:43]
	v_add_f64 v[40:41], v[44:45], -v[40:41]
	v_add_f64 v[42:43], v[46:47], -v[42:43]
	;; [unrolled: 4-line block ×4, first 2 shown]
	v_add_f64 v[58:59], v[58:59], -v[44:45]
	v_add_f64 v[60:61], v[60:61], -v[46:47]
	;; [unrolled: 1-line block ×4, first 2 shown]
	v_add_f64 v[66:67], v[32:33], v[40:41]
	v_add_f64 v[68:69], v[34:35], v[42:43]
	v_add_f64 v[70:71], v[32:33], -v[40:41]
	v_add_f64 v[72:73], v[34:35], -v[42:43]
	v_add_f64 v[36:37], v[44:45], v[36:37]
	v_add_f64 v[38:39], v[46:47], v[38:39]
	v_add_f64 v[40:41], v[40:41], -v[48:49]
	v_add_f64 v[42:43], v[42:43], -v[50:51]
	v_add_f64 v[32:33], v[48:49], -v[32:33]
	v_add_f64 v[34:35], v[50:51], -v[34:35]
	v_add_f64 v[44:45], v[66:67], v[48:49]
	v_add_f64 v[46:47], v[68:69], v[50:51]
	v_mul_f64 v[48:49], v[58:59], s[10:11]
	v_mul_f64 v[50:51], v[60:61], s[10:11]
	v_mul_f64 v[58:59], v[52:53], s[12:13]
	v_mul_f64 v[60:61], v[54:55], s[12:13]
	v_mul_f64 v[66:67], v[70:71], s[16:17]
	v_mul_f64 v[68:69], v[72:73], s[16:17]
	v_add_f64 v[28:29], v[28:29], v[36:37]
	v_add_f64 v[30:31], v[30:31], v[38:39]
	v_mul_f64 v[70:71], v[40:41], s[4:5]
	v_mul_f64 v[72:73], v[42:43], s[4:5]
	v_fma_f64 v[52:53], v[52:53], s[12:13], v[48:49]
	v_fma_f64 v[54:55], v[54:55], s[12:13], v[50:51]
	v_fma_f64 v[58:59], v[62:63], s[14:15], -v[58:59]
	v_fma_f64 v[60:61], v[64:65], s[14:15], -v[60:61]
	;; [unrolled: 1-line block ×4, first 2 shown]
	v_fma_f64 v[62:63], v[32:33], s[22:23], v[66:67]
	v_fma_f64 v[64:65], v[34:35], s[22:23], v[68:69]
	;; [unrolled: 1-line block ×4, first 2 shown]
	v_fma_f64 v[32:33], v[32:33], s[24:25], -v[70:71]
	v_fma_f64 v[34:35], v[34:35], s[24:25], -v[72:73]
	v_fma_f64 v[40:41], v[40:41], s[4:5], -v[66:67]
	v_fma_f64 v[42:43], v[42:43], s[4:5], -v[68:69]
	v_fma_f64 v[62:63], v[44:45], s[18:19], v[62:63]
	v_fma_f64 v[64:65], v[46:47], s[18:19], v[64:65]
	v_add_f64 v[52:53], v[52:53], v[36:37]
	v_add_f64 v[54:55], v[54:55], v[38:39]
	v_fma_f64 v[70:71], v[44:45], s[18:19], v[32:33]
	v_fma_f64 v[72:73], v[46:47], s[18:19], v[34:35]
	v_add_f64 v[48:49], v[48:49], v[36:37]
	v_add_f64 v[50:51], v[50:51], v[38:39]
	;; [unrolled: 4-line block ×3, first 2 shown]
	v_add_f64 v[32:33], v[64:65], v[52:53]
	v_add_f64 v[34:35], v[54:55], -v[62:63]
	v_add_f64 v[36:37], v[72:73], v[48:49]
	v_add_f64 v[38:39], v[50:51], -v[70:71]
	v_add_f64 v[48:49], v[48:49], -v[72:73]
	v_add_f64 v[50:51], v[70:71], v[50:51]
	v_add_f64 v[40:41], v[44:45], -v[68:69]
	v_add_f64 v[42:43], v[66:67], v[46:47]
	v_add_f64 v[44:45], v[68:69], v[44:45]
	v_add_f64 v[46:47], v[46:47], -v[66:67]
	v_add_f64 v[52:53], v[52:53], -v[64:65]
	v_add_f64 v[54:55], v[62:63], v[54:55]
	ds_write_b128 v77, v[28:31]
	ds_write_b128 v77, v[32:35] offset:832
	ds_write_b128 v77, v[36:39] offset:1664
	ds_write_b128 v77, v[40:43] offset:2496
	ds_write_b128 v77, v[44:47] offset:3328
	ds_write_b128 v77, v[48:51] offset:4160
	ds_write_b128 v77, v[52:55] offset:4992
	s_and_saveexec_b64 s[26:27], vcc
	s_cbranch_execz .LBB0_23
; %bb.22:
	v_lshrrev_b32_e32 v28, 20, v57
	v_mul_lo_u16_e32 v28, 52, v28
	v_sub_u16_e32 v64, v56, v28
	v_mul_u32_u24_e32 v28, 6, v64
	v_lshlrev_b32_e32 v52, 4, v28
	global_load_dwordx4 v[28:31], v52, s[8:9] offset:672
	global_load_dwordx4 v[32:35], v52, s[8:9] offset:656
	;; [unrolled: 1-line block ×6, first 2 shown]
	s_waitcnt vmcnt(5)
	v_mul_f64 v[52:53], v[10:11], v[30:31]
	s_waitcnt vmcnt(4)
	v_mul_f64 v[54:55], v[6:7], v[34:35]
	;; [unrolled: 2-line block ×6, first 2 shown]
	v_mul_f64 v[38:39], v[12:13], v[38:39]
	v_mul_f64 v[42:43], v[0:1], v[42:43]
	;; [unrolled: 1-line block ×6, first 2 shown]
	v_fma_f64 v[8:9], v[8:9], v[28:29], v[52:53]
	v_fma_f64 v[4:5], v[4:5], v[32:33], v[54:55]
	;; [unrolled: 1-line block ×6, first 2 shown]
	v_fma_f64 v[14:15], v[14:15], v[36:37], -v[38:39]
	v_fma_f64 v[2:3], v[2:3], v[40:41], -v[42:43]
	;; [unrolled: 1-line block ×6, first 2 shown]
	v_add_f64 v[28:29], v[8:9], -v[4:5]
	v_add_f64 v[30:31], v[12:13], -v[0:1]
	v_add_f64 v[4:5], v[4:5], v[8:9]
	v_add_f64 v[36:37], v[14:15], v[2:3]
	;; [unrolled: 1-line block ×5, first 2 shown]
	v_add_f64 v[32:33], v[16:17], -v[24:25]
	v_add_f64 v[34:35], v[6:7], v[10:11]
	v_add_f64 v[6:7], v[10:11], -v[6:7]
	v_add_f64 v[2:3], v[14:15], -v[2:3]
	;; [unrolled: 1-line block ×3, first 2 shown]
	v_add_f64 v[12:13], v[28:29], v[30:31]
	v_add_f64 v[26:27], v[36:37], v[38:39]
	;; [unrolled: 1-line block ×3, first 2 shown]
	v_add_f64 v[14:15], v[28:29], -v[30:31]
	v_add_f64 v[16:17], v[32:33], -v[28:29]
	;; [unrolled: 1-line block ×5, first 2 shown]
	v_add_f64 v[44:45], v[6:7], v[2:3]
	v_add_f64 v[46:47], v[6:7], -v[2:3]
	v_add_f64 v[30:31], v[30:31], -v[32:33]
	v_add_f64 v[26:27], v[34:35], v[26:27]
	v_add_f64 v[4:5], v[4:5], v[42:43]
	v_add_f64 v[18:19], v[34:35], -v[36:37]
	v_add_f64 v[36:37], v[36:37], -v[38:39]
	;; [unrolled: 1-line block ×5, first 2 shown]
	v_mul_f64 v[14:15], v[14:15], s[16:17]
	v_mul_f64 v[24:25], v[24:25], s[10:11]
	v_mul_f64 v[40:41], v[40:41], s[10:11]
	v_add_f64 v[10:11], v[44:45], v[10:11]
	v_mul_f64 v[42:43], v[46:47], s[16:17]
	v_mul_f64 v[44:45], v[30:31], s[4:5]
	v_add_f64 v[2:3], v[22:23], v[26:27]
	v_add_f64 v[0:1], v[20:21], v[4:5]
	;; [unrolled: 1-line block ×3, first 2 shown]
	v_mul_f64 v[32:33], v[18:19], s[12:13]
	v_mul_f64 v[46:47], v[38:39], s[4:5]
	;; [unrolled: 1-line block ×3, first 2 shown]
	v_fma_f64 v[48:49], v[16:17], s[22:23], v[14:15]
	v_fma_f64 v[18:19], v[18:19], s[12:13], v[24:25]
	;; [unrolled: 1-line block ×4, first 2 shown]
	v_fma_f64 v[16:17], v[16:17], s[24:25], -v[44:45]
	v_fma_f64 v[24:25], v[36:37], s[20:21], -v[24:25]
	v_fma_f64 v[26:27], v[26:27], s[6:7], v[2:3]
	v_fma_f64 v[4:5], v[4:5], s[6:7], v[0:1]
	v_fma_f64 v[28:29], v[8:9], s[20:21], -v[40:41]
	v_fma_f64 v[6:7], v[6:7], s[24:25], -v[46:47]
	;; [unrolled: 1-line block ×6, first 2 shown]
	v_fma_f64 v[34:35], v[12:13], s[18:19], v[48:49]
	v_fma_f64 v[36:37], v[10:11], s[18:19], v[20:21]
	v_fma_f64 v[16:17], v[12:13], s[18:19], v[16:17]
	v_add_f64 v[20:21], v[18:19], v[26:27]
	v_add_f64 v[24:25], v[24:25], v[26:27]
	;; [unrolled: 1-line block ×4, first 2 shown]
	v_fma_f64 v[32:33], v[10:11], s[18:19], v[6:7]
	v_add_f64 v[28:29], v[28:29], v[4:5]
	v_fma_f64 v[12:13], v[12:13], s[18:19], v[14:15]
	v_fma_f64 v[30:31], v[10:11], s[18:19], v[30:31]
	v_add_f64 v[4:5], v[8:9], v[4:5]
	v_add_f64 v[10:11], v[16:17], v[24:25]
	v_add_f64 v[22:23], v[24:25], -v[16:17]
	v_add_f64 v[26:27], v[20:21], -v[34:35]
	v_add_f64 v[24:25], v[36:37], v[38:39]
	v_add_f64 v[6:7], v[34:35], v[20:21]
	;; [unrolled: 1-line block ×3, first 2 shown]
	v_add_f64 v[14:15], v[18:19], -v[12:13]
	v_add_f64 v[18:19], v[12:13], v[18:19]
	v_add_f64 v[16:17], v[4:5], -v[30:31]
	v_add_f64 v[12:13], v[30:31], v[4:5]
	v_add_f64 v[8:9], v[28:29], -v[32:33]
	v_add_f64 v[4:5], v[38:39], -v[36:37]
	v_lshl_add_u32 v28, v64, 4, 0
	ds_write_b128 v28, v[0:3] offset:17472
	ds_write_b128 v28, v[24:27] offset:18304
	;; [unrolled: 1-line block ×7, first 2 shown]
.LBB0_23:
	s_or_b64 exec, exec, s[26:27]
	s_waitcnt lgkmcnt(0)
	s_barrier
	buffer_load_dword v0, off, s[48:51], 0  ; 4-byte Folded Reload
	buffer_load_dword v1, off, s[48:51], 0 offset:4 ; 4-byte Folded Reload
	v_mov_b32_e32 v4, s9
	s_movk_i32 s4, 0x1000
	s_movk_i32 s5, 0x3000
	;; [unrolled: 1-line block ×3, first 2 shown]
	s_waitcnt vmcnt(1)
	v_add_co_u32_e32 v40, vcc, s8, v0
	s_waitcnt vmcnt(0)
	v_addc_co_u32_e32 v41, vcc, v4, v1, vcc
	v_add_co_u32_e32 v0, vcc, s4, v40
	v_addc_co_u32_e32 v1, vcc, 0, v41, vcc
	global_load_dwordx4 v[0:3], v[0:1], off offset:1520
	s_nop 0
	buffer_load_dword v5, off, s[48:51], 0 offset:8 ; 4-byte Folded Reload
	buffer_load_dword v6, off, s[48:51], 0 offset:12 ; 4-byte Folded Reload
	s_movk_i32 s4, 0x2000
	s_waitcnt vmcnt(1)
	v_add_co_u32_e32 v56, vcc, s8, v5
	s_waitcnt vmcnt(0)
	v_addc_co_u32_e32 v57, vcc, v4, v6, vcc
	v_add_co_u32_e32 v4, vcc, s4, v56
	v_addc_co_u32_e32 v5, vcc, 0, v57, vcc
	global_load_dwordx4 v[4:7], v[4:5], off offset:336
	ds_read_b128 v[8:11], v248
	ds_read_b128 v[12:15], v248 offset:2912
	ds_read_b128 v[16:19], v248 offset:11648
	;; [unrolled: 1-line block ×7, first 2 shown]
	s_waitcnt lgkmcnt(5)
	v_mul_f64 v[44:45], v[18:19], v[2:3]
	v_mul_f64 v[46:47], v[16:17], v[2:3]
	v_add_co_u32_e32 v40, vcc, s4, v40
	s_waitcnt lgkmcnt(1)
	v_mul_f64 v[52:53], v[34:35], v[2:3]
	v_mul_f64 v[2:3], v[32:33], v[2:3]
	v_addc_co_u32_e32 v41, vcc, 0, v41, vcc
	v_fma_f64 v[16:17], v[16:17], v[0:1], v[44:45]
	v_fma_f64 v[18:19], v[18:19], v[0:1], -v[46:47]
	v_add_co_u32_e32 v42, vcc, s5, v56
	v_fma_f64 v[32:33], v[32:33], v[0:1], v[52:53]
	v_fma_f64 v[34:35], v[34:35], v[0:1], -v[2:3]
	v_addc_co_u32_e32 v43, vcc, 0, v57, vcc
	v_add_f64 v[0:1], v[8:9], -v[16:17]
	v_add_f64 v[2:3], v[10:11], -v[18:19]
	s_waitcnt vmcnt(0) lgkmcnt(0)
	s_barrier
	v_add_f64 v[16:17], v[24:25], -v[32:33]
	v_add_f64 v[18:19], v[26:27], -v[34:35]
	v_fma_f64 v[8:9], v[8:9], 2.0, -v[0:1]
	v_fma_f64 v[10:11], v[10:11], 2.0, -v[2:3]
	;; [unrolled: 1-line block ×4, first 2 shown]
	v_mul_f64 v[48:49], v[22:23], v[6:7]
	v_mul_f64 v[50:51], v[20:21], v[6:7]
	;; [unrolled: 1-line block ×4, first 2 shown]
	v_fma_f64 v[20:21], v[20:21], v[4:5], v[48:49]
	v_fma_f64 v[22:23], v[22:23], v[4:5], -v[50:51]
	v_fma_f64 v[36:37], v[36:37], v[4:5], v[54:55]
	v_fma_f64 v[38:39], v[38:39], v[4:5], -v[6:7]
	v_add_f64 v[4:5], v[12:13], -v[20:21]
	v_add_f64 v[6:7], v[14:15], -v[22:23]
	v_add_f64 v[20:21], v[28:29], -v[36:37]
	v_add_f64 v[22:23], v[30:31], -v[38:39]
	v_fma_f64 v[12:13], v[12:13], 2.0, -v[4:5]
	v_fma_f64 v[14:15], v[14:15], 2.0, -v[6:7]
	;; [unrolled: 1-line block ×4, first 2 shown]
	ds_write_b128 v248, v[0:3] offset:5824
	ds_write_b128 v248, v[4:7] offset:8736
	;; [unrolled: 1-line block ×4, first 2 shown]
	ds_write_b128 v248, v[8:11]
	ds_write_b128 v248, v[12:15] offset:2912
	ds_write_b128 v248, v[24:27] offset:11648
	;; [unrolled: 1-line block ×3, first 2 shown]
	s_waitcnt lgkmcnt(0)
	s_barrier
	global_load_dwordx4 v[0:3], v[40:41], off offset:3248
	global_load_dwordx4 v[4:7], v[42:43], off offset:2064
	v_add_co_u32_e32 v16, vcc, s6, v56
	v_addc_co_u32_e32 v17, vcc, 0, v57, vcc
	global_load_dwordx4 v[8:11], v[16:17], off offset:880
	global_load_dwordx4 v[12:15], v[16:17], off offset:3792
	ds_read_b128 v[16:19], v248
	ds_read_b128 v[20:23], v248 offset:2912
	ds_read_b128 v[24:27], v248 offset:11648
	;; [unrolled: 1-line block ×7, first 2 shown]
	s_waitcnt vmcnt(0) lgkmcnt(0)
	s_barrier
	v_mul_f64 v[48:49], v[26:27], v[2:3]
	v_mul_f64 v[2:3], v[24:25], v[2:3]
	;; [unrolled: 1-line block ×8, first 2 shown]
	v_fma_f64 v[24:25], v[24:25], v[0:1], v[48:49]
	v_fma_f64 v[2:3], v[26:27], v[0:1], -v[2:3]
	v_fma_f64 v[26:27], v[28:29], v[4:5], v[50:51]
	v_fma_f64 v[6:7], v[30:31], v[4:5], -v[6:7]
	;; [unrolled: 2-line block ×4, first 2 shown]
	v_add_f64 v[0:1], v[16:17], -v[24:25]
	v_add_f64 v[2:3], v[18:19], -v[2:3]
	;; [unrolled: 1-line block ×8, first 2 shown]
	v_fma_f64 v[16:17], v[16:17], 2.0, -v[0:1]
	v_fma_f64 v[18:19], v[18:19], 2.0, -v[2:3]
	;; [unrolled: 1-line block ×8, first 2 shown]
	ds_write_b128 v248, v[0:3] offset:11648
	ds_write_b128 v248, v[4:7] offset:14560
	;; [unrolled: 1-line block ×4, first 2 shown]
	ds_write_b128 v248, v[16:19]
	ds_write_b128 v248, v[20:23] offset:2912
	ds_write_b128 v248, v[24:27] offset:5824
	;; [unrolled: 1-line block ×3, first 2 shown]
	s_waitcnt lgkmcnt(0)
	s_barrier
	s_and_saveexec_b64 s[4:5], s[0:1]
	s_cbranch_execz .LBB0_25
; %bb.24:
	v_lshl_add_u32 v10, v78, 4, 0
	v_mov_b32_e32 v79, 0
	ds_read_b128 v[0:3], v10
	v_mov_b32_e32 v4, s3
	v_add_co_u32_e32 v11, vcc, s2, v253
	v_addc_co_u32_e32 v12, vcc, v4, v254, vcc
	v_lshlrev_b64 v[4:5], 4, v[78:79]
	v_add_co_u32_e32 v8, vcc, v11, v4
	v_addc_co_u32_e32 v9, vcc, v12, v5, vcc
	ds_read_b128 v[4:7], v10 offset:2912
	s_waitcnt lgkmcnt(1)
	global_store_dwordx4 v[8:9], v[0:3], off
	s_nop 0
	v_add_u32_e32 v0, 0xb6, v78
	v_mov_b32_e32 v1, v79
	v_lshlrev_b64 v[0:1], 4, v[0:1]
	v_add_co_u32_e32 v0, vcc, v11, v0
	v_addc_co_u32_e32 v1, vcc, v12, v1, vcc
	s_waitcnt lgkmcnt(0)
	global_store_dwordx4 v[0:1], v[4:7], off
	ds_read_b128 v[0:3], v10 offset:5824
	v_add_u32_e32 v4, 0x16c, v78
	v_mov_b32_e32 v5, v79
	v_lshlrev_b64 v[4:5], 4, v[4:5]
	v_add_co_u32_e32 v8, vcc, v11, v4
	v_addc_co_u32_e32 v9, vcc, v12, v5, vcc
	ds_read_b128 v[4:7], v10 offset:8736
	s_waitcnt lgkmcnt(1)
	global_store_dwordx4 v[8:9], v[0:3], off
	s_nop 0
	v_add_u32_e32 v0, 0x222, v78
	v_mov_b32_e32 v1, v79
	v_lshlrev_b64 v[0:1], 4, v[0:1]
	v_add_co_u32_e32 v0, vcc, v11, v0
	v_addc_co_u32_e32 v1, vcc, v12, v1, vcc
	s_waitcnt lgkmcnt(0)
	global_store_dwordx4 v[0:1], v[4:7], off
	ds_read_b128 v[0:3], v10 offset:11648
	v_add_u32_e32 v4, 0x2d8, v78
	v_mov_b32_e32 v5, v79
	;; [unrolled: 17-line block ×3, first 2 shown]
	v_lshlrev_b64 v[4:5], 4, v[4:5]
	v_add_u32_e32 v78, 0x4fa, v78
	v_add_co_u32_e32 v8, vcc, v11, v4
	v_addc_co_u32_e32 v9, vcc, v12, v5, vcc
	ds_read_b128 v[4:7], v10 offset:20384
	s_waitcnt lgkmcnt(1)
	global_store_dwordx4 v[8:9], v[0:3], off
	s_nop 0
	v_lshlrev_b64 v[0:1], 4, v[78:79]
	v_add_co_u32_e32 v0, vcc, v11, v0
	v_addc_co_u32_e32 v1, vcc, v12, v1, vcc
	s_waitcnt lgkmcnt(0)
	global_store_dwordx4 v[0:1], v[4:7], off
.LBB0_25:
	s_endpgm
	.section	.rodata,"a",@progbits
	.p2align	6, 0x0
	.amdhsa_kernel fft_rtc_back_len1456_factors_13_4_7_2_2_wgs_182_tpt_182_halfLds_dp_ip_CI_unitstride_sbrr_C2R_dirReg
		.amdhsa_group_segment_fixed_size 0
		.amdhsa_private_segment_fixed_size 52
		.amdhsa_kernarg_size 88
		.amdhsa_user_sgpr_count 6
		.amdhsa_user_sgpr_private_segment_buffer 1
		.amdhsa_user_sgpr_dispatch_ptr 0
		.amdhsa_user_sgpr_queue_ptr 0
		.amdhsa_user_sgpr_kernarg_segment_ptr 1
		.amdhsa_user_sgpr_dispatch_id 0
		.amdhsa_user_sgpr_flat_scratch_init 0
		.amdhsa_user_sgpr_private_segment_size 0
		.amdhsa_uses_dynamic_stack 0
		.amdhsa_system_sgpr_private_segment_wavefront_offset 1
		.amdhsa_system_sgpr_workgroup_id_x 1
		.amdhsa_system_sgpr_workgroup_id_y 0
		.amdhsa_system_sgpr_workgroup_id_z 0
		.amdhsa_system_sgpr_workgroup_info 0
		.amdhsa_system_vgpr_workitem_id 0
		.amdhsa_next_free_vgpr 255
		.amdhsa_next_free_sgpr 52
		.amdhsa_reserve_vcc 1
		.amdhsa_reserve_flat_scratch 0
		.amdhsa_float_round_mode_32 0
		.amdhsa_float_round_mode_16_64 0
		.amdhsa_float_denorm_mode_32 3
		.amdhsa_float_denorm_mode_16_64 3
		.amdhsa_dx10_clamp 1
		.amdhsa_ieee_mode 1
		.amdhsa_fp16_overflow 0
		.amdhsa_exception_fp_ieee_invalid_op 0
		.amdhsa_exception_fp_denorm_src 0
		.amdhsa_exception_fp_ieee_div_zero 0
		.amdhsa_exception_fp_ieee_overflow 0
		.amdhsa_exception_fp_ieee_underflow 0
		.amdhsa_exception_fp_ieee_inexact 0
		.amdhsa_exception_int_div_zero 0
	.end_amdhsa_kernel
	.text
.Lfunc_end0:
	.size	fft_rtc_back_len1456_factors_13_4_7_2_2_wgs_182_tpt_182_halfLds_dp_ip_CI_unitstride_sbrr_C2R_dirReg, .Lfunc_end0-fft_rtc_back_len1456_factors_13_4_7_2_2_wgs_182_tpt_182_halfLds_dp_ip_CI_unitstride_sbrr_C2R_dirReg
                                        ; -- End function
	.section	.AMDGPU.csdata,"",@progbits
; Kernel info:
; codeLenInByte = 11280
; NumSgprs: 56
; NumVgprs: 255
; ScratchSize: 52
; MemoryBound: 0
; FloatMode: 240
; IeeeMode: 1
; LDSByteSize: 0 bytes/workgroup (compile time only)
; SGPRBlocks: 6
; VGPRBlocks: 63
; NumSGPRsForWavesPerEU: 56
; NumVGPRsForWavesPerEU: 255
; Occupancy: 1
; WaveLimiterHint : 1
; COMPUTE_PGM_RSRC2:SCRATCH_EN: 1
; COMPUTE_PGM_RSRC2:USER_SGPR: 6
; COMPUTE_PGM_RSRC2:TRAP_HANDLER: 0
; COMPUTE_PGM_RSRC2:TGID_X_EN: 1
; COMPUTE_PGM_RSRC2:TGID_Y_EN: 0
; COMPUTE_PGM_RSRC2:TGID_Z_EN: 0
; COMPUTE_PGM_RSRC2:TIDIG_COMP_CNT: 0
	.type	__hip_cuid_23ae0aaef26e82e2,@object ; @__hip_cuid_23ae0aaef26e82e2
	.section	.bss,"aw",@nobits
	.globl	__hip_cuid_23ae0aaef26e82e2
__hip_cuid_23ae0aaef26e82e2:
	.byte	0                               ; 0x0
	.size	__hip_cuid_23ae0aaef26e82e2, 1

	.ident	"AMD clang version 19.0.0git (https://github.com/RadeonOpenCompute/llvm-project roc-6.4.0 25133 c7fe45cf4b819c5991fe208aaa96edf142730f1d)"
	.section	".note.GNU-stack","",@progbits
	.addrsig
	.addrsig_sym __hip_cuid_23ae0aaef26e82e2
	.amdgpu_metadata
---
amdhsa.kernels:
  - .args:
      - .actual_access:  read_only
        .address_space:  global
        .offset:         0
        .size:           8
        .value_kind:     global_buffer
      - .offset:         8
        .size:           8
        .value_kind:     by_value
      - .actual_access:  read_only
        .address_space:  global
        .offset:         16
        .size:           8
        .value_kind:     global_buffer
      - .actual_access:  read_only
        .address_space:  global
        .offset:         24
        .size:           8
        .value_kind:     global_buffer
      - .offset:         32
        .size:           8
        .value_kind:     by_value
      - .actual_access:  read_only
        .address_space:  global
        .offset:         40
        .size:           8
        .value_kind:     global_buffer
      - .actual_access:  read_only
        .address_space:  global
        .offset:         48
        .size:           8
        .value_kind:     global_buffer
      - .offset:         56
        .size:           4
        .value_kind:     by_value
      - .actual_access:  read_only
        .address_space:  global
        .offset:         64
        .size:           8
        .value_kind:     global_buffer
      - .actual_access:  read_only
        .address_space:  global
        .offset:         72
        .size:           8
        .value_kind:     global_buffer
      - .address_space:  global
        .offset:         80
        .size:           8
        .value_kind:     global_buffer
    .group_segment_fixed_size: 0
    .kernarg_segment_align: 8
    .kernarg_segment_size: 88
    .language:       OpenCL C
    .language_version:
      - 2
      - 0
    .max_flat_workgroup_size: 182
    .name:           fft_rtc_back_len1456_factors_13_4_7_2_2_wgs_182_tpt_182_halfLds_dp_ip_CI_unitstride_sbrr_C2R_dirReg
    .private_segment_fixed_size: 52
    .sgpr_count:     56
    .sgpr_spill_count: 0
    .symbol:         fft_rtc_back_len1456_factors_13_4_7_2_2_wgs_182_tpt_182_halfLds_dp_ip_CI_unitstride_sbrr_C2R_dirReg.kd
    .uniform_work_group_size: 1
    .uses_dynamic_stack: false
    .vgpr_count:     255
    .vgpr_spill_count: 12
    .wavefront_size: 64
amdhsa.target:   amdgcn-amd-amdhsa--gfx906
amdhsa.version:
  - 1
  - 2
...

	.end_amdgpu_metadata
